;; amdgpu-corpus repo=ROCm/rocFFT kind=compiled arch=gfx1201 opt=O3
	.text
	.amdgcn_target "amdgcn-amd-amdhsa--gfx1201"
	.amdhsa_code_object_version 6
	.protected	fft_rtc_fwd_len128_factors_16_8_wgs_256_tpt_16_dp_op_CI_CI_sbcc_twdbase8_3step_dirReg ; -- Begin function fft_rtc_fwd_len128_factors_16_8_wgs_256_tpt_16_dp_op_CI_CI_sbcc_twdbase8_3step_dirReg
	.globl	fft_rtc_fwd_len128_factors_16_8_wgs_256_tpt_16_dp_op_CI_CI_sbcc_twdbase8_3step_dirReg
	.p2align	8
	.type	fft_rtc_fwd_len128_factors_16_8_wgs_256_tpt_16_dp_op_CI_CI_sbcc_twdbase8_3step_dirReg,@function
fft_rtc_fwd_len128_factors_16_8_wgs_256_tpt_16_dp_op_CI_CI_sbcc_twdbase8_3step_dirReg: ; @fft_rtc_fwd_len128_factors_16_8_wgs_256_tpt_16_dp_op_CI_CI_sbcc_twdbase8_3step_dirReg
; %bb.0:
	s_clause 0x1
	s_load_b128 s[20:23], s[0:1], 0x18
	s_load_b64 s[2:3], s[0:1], 0x28
	s_mov_b32 s14, ttmp9
	s_mov_b32 s15, 0
	s_mov_b64 s[24:25], 0
	s_wait_kmcnt 0x0
	s_load_b64 s[30:31], s[20:21], 0x8
	s_wait_kmcnt 0x0
	s_add_nc_u64 s[4:5], s[30:31], -1
	s_delay_alu instid0(SALU_CYCLE_1) | instskip(NEXT) | instid1(SALU_CYCLE_1)
	s_lshr_b64 s[4:5], s[4:5], 4
	s_add_nc_u64 s[12:13], s[4:5], 1
	s_delay_alu instid0(SALU_CYCLE_1) | instskip(NEXT) | instid1(VALU_DEP_1)
	v_cmp_lt_u64_e64 s4, s[14:15], s[12:13]
	s_and_b32 vcc_lo, exec_lo, s4
	s_cbranch_vccnz .LBB0_2
; %bb.1:
	v_cvt_f32_u32_e32 v1, s12
	s_sub_co_i32 s5, 0, s12
	s_mov_b32 s25, s15
	s_delay_alu instid0(VALU_DEP_1) | instskip(NEXT) | instid1(TRANS32_DEP_1)
	v_rcp_iflag_f32_e32 v1, v1
	v_mul_f32_e32 v1, 0x4f7ffffe, v1
	s_delay_alu instid0(VALU_DEP_1) | instskip(NEXT) | instid1(VALU_DEP_1)
	v_cvt_u32_f32_e32 v1, v1
	v_readfirstlane_b32 s4, v1
	s_delay_alu instid0(VALU_DEP_1) | instskip(NEXT) | instid1(SALU_CYCLE_1)
	s_mul_i32 s5, s5, s4
	s_mul_hi_u32 s5, s4, s5
	s_delay_alu instid0(SALU_CYCLE_1) | instskip(NEXT) | instid1(SALU_CYCLE_1)
	s_add_co_i32 s4, s4, s5
	s_mul_hi_u32 s4, s14, s4
	s_delay_alu instid0(SALU_CYCLE_1) | instskip(SKIP_2) | instid1(SALU_CYCLE_1)
	s_mul_i32 s5, s4, s12
	s_add_co_i32 s6, s4, 1
	s_sub_co_i32 s5, s14, s5
	s_sub_co_i32 s7, s5, s12
	s_cmp_ge_u32 s5, s12
	s_cselect_b32 s4, s6, s4
	s_cselect_b32 s5, s7, s5
	s_add_co_i32 s6, s4, 1
	s_cmp_ge_u32 s5, s12
	s_cselect_b32 s24, s6, s4
.LBB0_2:
	s_load_b128 s[8:11], s[0:1], 0x8
	s_load_b128 s[16:19], s[22:23], 0x0
	;; [unrolled: 1-line block ×3, first 2 shown]
	s_load_b64 s[28:29], s[0:1], 0x0
	s_mul_u64 s[26:27], s[24:25], s[12:13]
	s_delay_alu instid0(SALU_CYCLE_1) | instskip(NEXT) | instid1(SALU_CYCLE_1)
	s_sub_nc_u64 s[26:27], s[14:15], s[26:27]
	s_lshl_b64 s[34:35], s[26:27], 4
	s_wait_kmcnt 0x0
	v_cmp_lt_u64_e64 s33, s[10:11], 3
	s_mul_u64 s[36:37], s[18:19], s[34:35]
	s_mul_u64 s[26:27], s[6:7], s[34:35]
	s_delay_alu instid0(VALU_DEP_1)
	s_and_b32 vcc_lo, exec_lo, s33
	s_cbranch_vccnz .LBB0_12
; %bb.3:
	s_add_nc_u64 s[38:39], s[2:3], 16
	s_add_nc_u64 s[40:41], s[22:23], 16
	;; [unrolled: 1-line block ×3, first 2 shown]
	s_mov_b64 s[42:43], 2
	s_mov_b32 s44, 0
.LBB0_4:                                ; =>This Inner Loop Header: Depth=1
	s_load_b64 s[46:47], s[20:21], 0x0
                                        ; implicit-def: $sgpr50_sgpr51
	s_wait_kmcnt 0x0
	s_or_b64 s[48:49], s[24:25], s[46:47]
	s_delay_alu instid0(SALU_CYCLE_1)
	s_mov_b32 s45, s49
	s_mov_b32 s49, -1
	s_cmp_lg_u64 s[44:45], 0
	s_cbranch_scc0 .LBB0_6
; %bb.5:                                ;   in Loop: Header=BB0_4 Depth=1
	s_cvt_f32_u32 s33, s46
	s_cvt_f32_u32 s45, s47
	s_sub_nc_u64 s[52:53], 0, s[46:47]
	s_mov_b32 s49, 0
	s_mov_b32 s57, s44
	s_wait_alu 0xfffe
	s_fmamk_f32 s33, s45, 0x4f800000, s33
	s_wait_alu 0xfffe
	s_delay_alu instid0(SALU_CYCLE_2) | instskip(NEXT) | instid1(TRANS32_DEP_1)
	v_s_rcp_f32 s33, s33
	s_mul_f32 s33, s33, 0x5f7ffffc
	s_wait_alu 0xfffe
	s_delay_alu instid0(SALU_CYCLE_2) | instskip(NEXT) | instid1(SALU_CYCLE_3)
	s_mul_f32 s45, s33, 0x2f800000
	s_trunc_f32 s45, s45
	s_delay_alu instid0(SALU_CYCLE_3) | instskip(SKIP_2) | instid1(SALU_CYCLE_1)
	s_fmamk_f32 s33, s45, 0xcf800000, s33
	s_cvt_u32_f32 s51, s45
	s_wait_alu 0xfffe
	s_cvt_u32_f32 s50, s33
	s_wait_alu 0xfffe
	s_delay_alu instid0(SALU_CYCLE_2)
	s_mul_u64 s[54:55], s[52:53], s[50:51]
	s_wait_alu 0xfffe
	s_mul_hi_u32 s59, s50, s55
	s_mul_i32 s58, s50, s55
	s_mul_hi_u32 s48, s50, s54
	s_mul_i32 s45, s51, s54
	s_add_nc_u64 s[58:59], s[48:49], s[58:59]
	s_mul_hi_u32 s33, s51, s54
	s_mul_hi_u32 s60, s51, s55
	s_add_co_u32 s45, s58, s45
	s_wait_alu 0xfffe
	s_add_co_ci_u32 s56, s59, s33
	s_mul_i32 s54, s51, s55
	s_add_co_ci_u32 s55, s60, 0
	s_wait_alu 0xfffe
	s_add_nc_u64 s[54:55], s[56:57], s[54:55]
	s_wait_alu 0xfffe
	v_add_co_u32 v1, s33, s50, s54
	s_delay_alu instid0(VALU_DEP_1) | instskip(SKIP_1) | instid1(VALU_DEP_1)
	s_cmp_lg_u32 s33, 0
	s_add_co_ci_u32 s51, s51, s55
	v_readfirstlane_b32 s50, v1
	s_mov_b32 s55, s44
	s_wait_alu 0xfffe
	s_delay_alu instid0(VALU_DEP_1)
	s_mul_u64 s[52:53], s[52:53], s[50:51]
	s_wait_alu 0xfffe
	s_mul_hi_u32 s57, s50, s53
	s_mul_i32 s56, s50, s53
	s_mul_hi_u32 s48, s50, s52
	s_mul_i32 s45, s51, s52
	s_add_nc_u64 s[56:57], s[48:49], s[56:57]
	s_mul_hi_u32 s33, s51, s52
	s_mul_hi_u32 s50, s51, s53
	s_add_co_u32 s45, s56, s45
	s_wait_alu 0xfffe
	s_add_co_ci_u32 s54, s57, s33
	s_mul_i32 s52, s51, s53
	s_add_co_ci_u32 s53, s50, 0
	s_wait_alu 0xfffe
	s_add_nc_u64 s[52:53], s[54:55], s[52:53]
	s_wait_alu 0xfffe
	v_add_co_u32 v1, s33, v1, s52
	s_delay_alu instid0(VALU_DEP_1) | instskip(SKIP_1) | instid1(VALU_DEP_1)
	s_cmp_lg_u32 s33, 0
	s_add_co_ci_u32 s33, s51, s53
	v_readfirstlane_b32 s45, v1
	s_wait_alu 0xfffe
	s_mul_hi_u32 s51, s24, s33
	s_mul_i32 s50, s24, s33
	s_mul_hi_u32 s53, s25, s33
	s_mul_i32 s52, s25, s33
	;; [unrolled: 2-line block ×3, first 2 shown]
	s_wait_alu 0xfffe
	s_add_nc_u64 s[50:51], s[48:49], s[50:51]
	s_mul_hi_u32 s45, s25, s45
	s_wait_alu 0xfffe
	s_add_co_u32 s33, s50, s33
	s_add_co_ci_u32 s54, s51, s45
	s_add_co_ci_u32 s53, s53, 0
	s_wait_alu 0xfffe
	s_add_nc_u64 s[50:51], s[54:55], s[52:53]
	s_wait_alu 0xfffe
	s_mul_u64 s[52:53], s[46:47], s[50:51]
	s_add_nc_u64 s[54:55], s[50:51], 1
	s_wait_alu 0xfffe
	v_sub_co_u32 v1, s33, s24, s52
	s_sub_co_i32 s45, s25, s53
	s_cmp_lg_u32 s33, 0
	s_add_nc_u64 s[56:57], s[50:51], 2
	s_delay_alu instid0(VALU_DEP_1) | instskip(SKIP_2) | instid1(VALU_DEP_1)
	v_sub_co_u32 v2, s48, v1, s46
	s_sub_co_ci_u32 s45, s45, s47
	s_cmp_lg_u32 s48, 0
	v_readfirstlane_b32 s48, v2
	s_sub_co_ci_u32 s45, s45, 0
	s_delay_alu instid0(SALU_CYCLE_1) | instskip(SKIP_1) | instid1(VALU_DEP_1)
	s_cmp_ge_u32 s45, s47
	s_cselect_b32 s52, -1, 0
	s_cmp_ge_u32 s48, s46
	s_cselect_b32 s48, -1, 0
	s_cmp_eq_u32 s45, s47
	s_wait_alu 0xfffe
	s_cselect_b32 s45, s48, s52
	s_delay_alu instid0(SALU_CYCLE_1)
	s_cmp_lg_u32 s45, 0
	s_cselect_b32 s45, s56, s54
	s_cselect_b32 s48, s57, s55
	s_cmp_lg_u32 s33, 0
	v_readfirstlane_b32 s33, v1
	s_sub_co_ci_u32 s52, s25, s53
	s_wait_alu 0xfffe
	s_cmp_ge_u32 s52, s47
	s_cselect_b32 s53, -1, 0
	s_cmp_ge_u32 s33, s46
	s_cselect_b32 s33, -1, 0
	s_cmp_eq_u32 s52, s47
	s_wait_alu 0xfffe
	s_cselect_b32 s33, s33, s53
	s_wait_alu 0xfffe
	s_cmp_lg_u32 s33, 0
	s_cselect_b32 s51, s48, s51
	s_cselect_b32 s50, s45, s50
.LBB0_6:                                ;   in Loop: Header=BB0_4 Depth=1
	s_and_not1_b32 vcc_lo, exec_lo, s49
	s_cbranch_vccnz .LBB0_8
; %bb.7:                                ;   in Loop: Header=BB0_4 Depth=1
	v_cvt_f32_u32_e32 v1, s46
	s_sub_co_i32 s45, 0, s46
	s_mov_b32 s51, s44
	s_delay_alu instid0(VALU_DEP_1) | instskip(NEXT) | instid1(TRANS32_DEP_1)
	v_rcp_iflag_f32_e32 v1, v1
	v_mul_f32_e32 v1, 0x4f7ffffe, v1
	s_delay_alu instid0(VALU_DEP_1) | instskip(NEXT) | instid1(VALU_DEP_1)
	v_cvt_u32_f32_e32 v1, v1
	v_readfirstlane_b32 s33, v1
	s_delay_alu instid0(VALU_DEP_1) | instskip(NEXT) | instid1(SALU_CYCLE_1)
	s_mul_i32 s45, s45, s33
	s_mul_hi_u32 s45, s33, s45
	s_delay_alu instid0(SALU_CYCLE_1)
	s_add_co_i32 s33, s33, s45
	s_wait_alu 0xfffe
	s_mul_hi_u32 s33, s24, s33
	s_wait_alu 0xfffe
	s_mul_i32 s45, s33, s46
	s_add_co_i32 s48, s33, 1
	s_sub_co_i32 s45, s24, s45
	s_delay_alu instid0(SALU_CYCLE_1)
	s_sub_co_i32 s49, s45, s46
	s_cmp_ge_u32 s45, s46
	s_cselect_b32 s33, s48, s33
	s_cselect_b32 s45, s49, s45
	s_wait_alu 0xfffe
	s_add_co_i32 s48, s33, 1
	s_cmp_ge_u32 s45, s46
	s_cselect_b32 s50, s48, s33
.LBB0_8:                                ;   in Loop: Header=BB0_4 Depth=1
	s_load_b64 s[48:49], s[40:41], 0x0
	s_load_b64 s[52:53], s[38:39], 0x0
	s_add_nc_u64 s[42:43], s[42:43], 1
	s_mul_u64 s[12:13], s[46:47], s[12:13]
	s_wait_alu 0xfffe
	v_cmp_ge_u64_e64 s33, s[42:43], s[10:11]
	s_mul_u64 s[46:47], s[50:51], s[46:47]
	s_add_nc_u64 s[38:39], s[38:39], 8
	s_wait_alu 0xfffe
	s_sub_nc_u64 s[24:25], s[24:25], s[46:47]
	s_add_nc_u64 s[40:41], s[40:41], 8
	s_add_nc_u64 s[20:21], s[20:21], 8
	s_and_b32 vcc_lo, exec_lo, s33
	s_wait_kmcnt 0x0
	s_wait_alu 0xfffe
	s_mul_u64 s[46:47], s[48:49], s[24:25]
	s_mul_u64 s[24:25], s[52:53], s[24:25]
	s_wait_alu 0xfffe
	s_add_nc_u64 s[36:37], s[46:47], s[36:37]
	s_add_nc_u64 s[26:27], s[24:25], s[26:27]
	s_cbranch_vccnz .LBB0_10
; %bb.9:                                ;   in Loop: Header=BB0_4 Depth=1
	s_mov_b64 s[24:25], s[50:51]
	s_branch .LBB0_4
.LBB0_10:
	v_cmp_lt_u64_e64 s13, s[14:15], s[12:13]
	s_mov_b64 s[24:25], 0
	s_delay_alu instid0(VALU_DEP_1)
	s_and_b32 vcc_lo, exec_lo, s13
	s_cbranch_vccnz .LBB0_12
; %bb.11:
	v_cvt_f32_u32_e32 v1, s12
	s_sub_co_i32 s15, 0, s12
	s_mov_b32 s25, 0
	s_delay_alu instid0(VALU_DEP_1) | instskip(NEXT) | instid1(TRANS32_DEP_1)
	v_rcp_iflag_f32_e32 v1, v1
	v_mul_f32_e32 v1, 0x4f7ffffe, v1
	s_delay_alu instid0(VALU_DEP_1) | instskip(NEXT) | instid1(VALU_DEP_1)
	v_cvt_u32_f32_e32 v1, v1
	v_readfirstlane_b32 s13, v1
	s_wait_alu 0xfffe
	s_delay_alu instid0(VALU_DEP_1)
	s_mul_i32 s15, s15, s13
	s_wait_alu 0xfffe
	s_mul_hi_u32 s15, s13, s15
	s_wait_alu 0xfffe
	s_add_co_i32 s13, s13, s15
	s_wait_alu 0xfffe
	s_mul_hi_u32 s13, s14, s13
	s_wait_alu 0xfffe
	s_mul_i32 s15, s13, s12
	s_wait_alu 0xfffe
	s_sub_co_i32 s14, s14, s15
	s_add_co_i32 s15, s13, 1
	s_wait_alu 0xfffe
	s_sub_co_i32 s20, s14, s12
	s_cmp_ge_u32 s14, s12
	s_cselect_b32 s13, s15, s13
	s_cselect_b32 s14, s20, s14
	s_wait_alu 0xfffe
	s_add_co_i32 s15, s13, 1
	s_cmp_ge_u32 s14, s12
	s_wait_alu 0xfffe
	s_cselect_b32 s24, s15, s13
.LBB0_12:
	s_lshl_b64 s[10:11], s[10:11], 3
	s_load_b128 s[12:15], s[0:1], 0x60
	s_add_nc_u64 s[0:1], s[22:23], s[10:11]
	v_lshrrev_b32_e32 v71, 4, v0
	s_load_b64 s[20:21], s[0:1], 0x0
	s_add_nc_u64 s[22:23], s[34:35], 16
	v_cmp_gt_u32_e64 s1, 0x80, v0
	v_cmp_le_u64_e64 s22, s[22:23], s[30:31]
	v_and_b32_e32 v70, 15, v0
	v_cmp_lt_u32_e64 s0, 0x7f, v0
	v_or_b32_e32 v82, 8, v71
	v_or_b32_e32 v73, 16, v71
	;; [unrolled: 1-line block ×15, first 2 shown]
	s_wait_kmcnt 0x0
	s_mul_u64 s[20:21], s[20:21], s[24:25]
	s_and_b32 s33, s1, s22
	s_add_nc_u64 s[20:21], s[20:21], s[36:37]
                                        ; implicit-def: $vgpr2_vgpr3
                                        ; implicit-def: $vgpr10_vgpr11
                                        ; implicit-def: $vgpr14_vgpr15
                                        ; implicit-def: $vgpr18_vgpr19
                                        ; implicit-def: $vgpr22_vgpr23
                                        ; implicit-def: $vgpr30_vgpr31
                                        ; implicit-def: $vgpr26_vgpr27
                                        ; implicit-def: $vgpr34_vgpr35
                                        ; implicit-def: $vgpr54_vgpr55
                                        ; implicit-def: $vgpr46_vgpr47
                                        ; implicit-def: $vgpr42_vgpr43
                                        ; implicit-def: $vgpr50_vgpr51
                                        ; implicit-def: $vgpr62_vgpr63
                                        ; implicit-def: $vgpr58_vgpr59
                                        ; implicit-def: $vgpr38_vgpr39
                                        ; implicit-def: $vgpr6_vgpr7
	s_wait_alu 0xfffe
	s_and_saveexec_b32 s23, s33
	s_cbranch_execz .LBB0_14
; %bb.13:
	v_mad_co_u64_u32 v[0:1], null, s18, v70, 0
	v_mad_co_u64_u32 v[2:3], null, s16, v71, 0
	;; [unrolled: 1-line block ×4, first 2 shown]
	s_lshl_b64 s[36:37], s[20:21], 4
	v_mad_co_u64_u32 v[15:16], null, s16, v80, 0
	s_delay_alu instid0(VALU_DEP_4) | instskip(NEXT) | instid1(VALU_DEP_4)
	v_mad_co_u64_u32 v[6:7], null, s19, v70, v[1:2]
	v_mad_co_u64_u32 v[7:8], null, s17, v71, v[3:4]
	;; [unrolled: 1-line block ×3, first 2 shown]
	v_mov_b32_e32 v1, v5
	s_add_nc_u64 s[36:37], s[12:13], s[36:37]
	v_mad_co_u64_u32 v[26:27], null, s16, v79, 0
	s_delay_alu instid0(VALU_DEP_4) | instskip(NEXT) | instid1(VALU_DEP_3)
	v_mov_b32_e32 v3, v7
	v_mad_co_u64_u32 v[10:11], null, s17, v82, v[1:2]
	v_mov_b32_e32 v1, v6
	v_mad_co_u64_u32 v[11:12], null, s16, v81, 0
	v_mov_b32_e32 v6, v9
	v_mad_co_u64_u32 v[24:25], null, s16, v74, 0
	v_dual_mov_b32 v5, v10 :: v_dual_mov_b32 v10, v14
	v_lshlrev_b64_e32 v[0:1], 4, v[0:1]
	v_mov_b32_e32 v14, v16
	v_lshlrev_b64_e32 v[2:3], 4, v[2:3]
	v_mad_co_u64_u32 v[28:29], null, s16, v68, 0
	v_mad_co_u64_u32 v[30:31], null, s16, v78, 0
	v_add_co_u32 v55, vcc_lo, s36, v0
	v_add_co_ci_u32_e32 v60, vcc_lo, s37, v1, vcc_lo
	v_lshlrev_b64_e32 v[0:1], 4, v[4:5]
	v_mad_co_u64_u32 v[4:5], null, s17, v73, v[6:7]
	v_mov_b32_e32 v5, v12
	v_add_co_u32 v2, vcc_lo, v55, v2
	s_wait_alu 0xfffd
	v_add_co_ci_u32_e32 v3, vcc_lo, v60, v3, vcc_lo
	s_delay_alu instid0(VALU_DEP_3) | instskip(SKIP_4) | instid1(VALU_DEP_4)
	v_mad_co_u64_u32 v[17:18], null, s17, v81, v[5:6]
	v_add_co_u32 v0, vcc_lo, v55, v0
	s_wait_alu 0xfffd
	v_add_co_ci_u32_e32 v1, vcc_lo, v60, v1, vcc_lo
	v_mad_co_u64_u32 v[40:41], null, s16, v69, 0
	v_mov_b32_e32 v12, v17
	v_mad_co_u64_u32 v[16:17], null, s17, v72, v[10:11]
	v_mad_co_u64_u32 v[17:18], null, s17, v80, v[14:15]
	v_mov_b32_e32 v9, v4
	s_delay_alu instid0(VALU_DEP_4)
	v_lshlrev_b64_e32 v[10:11], 4, v[11:12]
	v_mov_b32_e32 v12, v25
	v_mad_co_u64_u32 v[42:43], null, s16, v77, 0
	v_mov_b32_e32 v14, v16
	v_mov_b32_e32 v16, v17
	v_lshlrev_b64_e32 v[8:9], 4, v[8:9]
	v_mad_co_u64_u32 v[44:45], null, s16, v67, 0
	s_clause 0x1
	global_load_b128 v[4:7], v[2:3], off
	global_load_b128 v[0:3], v[0:1], off
	v_add_co_u32 v8, vcc_lo, v55, v8
	s_wait_alu 0xfffd
	v_add_co_ci_u32_e32 v9, vcc_lo, v60, v9, vcc_lo
	v_add_co_u32 v17, vcc_lo, v55, v10
	s_wait_alu 0xfffd
	v_add_co_ci_u32_e32 v18, vcc_lo, v60, v11, vcc_lo
	v_lshlrev_b64_e32 v[10:11], 4, v[13:14]
	v_lshlrev_b64_e32 v[13:14], 4, v[15:16]
	s_delay_alu instid0(VALU_DEP_2) | instskip(SKIP_1) | instid1(VALU_DEP_3)
	v_add_co_u32 v19, vcc_lo, v55, v10
	v_mov_b32_e32 v10, v27
	v_mad_co_u64_u32 v[15:16], null, s17, v74, v[12:13]
	s_wait_alu 0xfffd
	v_add_co_ci_u32_e32 v20, vcc_lo, v60, v11, vcc_lo
	s_delay_alu instid0(VALU_DEP_3) | instskip(SKIP_1) | instid1(VALU_DEP_4)
	v_mad_co_u64_u32 v[32:33], null, s17, v79, v[10:11]
	v_add_co_u32 v21, vcc_lo, v55, v13
	v_mov_b32_e32 v25, v15
	s_wait_alu 0xfffd
	v_add_co_ci_u32_e32 v22, vcc_lo, v60, v14, vcc_lo
	s_clause 0x3
	global_load_b128 v[8:11], v[8:9], off
	global_load_b128 v[12:15], v[17:18], off
	;; [unrolled: 1-line block ×4, first 2 shown]
	v_mov_b32_e32 v27, v32
	v_mad_co_u64_u32 v[32:33], null, s17, v68, v[29:30]
	v_lshlrev_b64_e32 v[24:25], 4, v[24:25]
	s_delay_alu instid0(VALU_DEP_3) | instskip(NEXT) | instid1(VALU_DEP_3)
	v_lshlrev_b64_e32 v[26:27], 4, v[26:27]
	v_mov_b32_e32 v29, v32
	v_mad_co_u64_u32 v[33:34], null, s17, v78, v[31:32]
	v_mov_b32_e32 v32, v41
	v_add_co_u32 v24, vcc_lo, v55, v24
	s_delay_alu instid0(VALU_DEP_4)
	v_lshlrev_b64_e32 v[28:29], 4, v[28:29]
	s_wait_alu 0xfffd
	v_add_co_ci_u32_e32 v25, vcc_lo, v60, v25, vcc_lo
	v_add_co_u32 v26, vcc_lo, v55, v26
	v_mov_b32_e32 v31, v33
	s_wait_alu 0xfffd
	v_add_co_ci_u32_e32 v27, vcc_lo, v60, v27, vcc_lo
	v_mad_co_u64_u32 v[32:33], null, s17, v69, v[32:33]
	v_add_co_u32 v33, vcc_lo, v55, v28
	v_mov_b32_e32 v28, v43
	v_lshlrev_b64_e32 v[30:31], 4, v[30:31]
	s_wait_alu 0xfffd
	v_add_co_ci_u32_e32 v34, vcc_lo, v60, v29, vcc_lo
	s_delay_alu instid0(VALU_DEP_3)
	v_mad_co_u64_u32 v[46:47], null, s17, v77, v[28:29]
	v_mad_co_u64_u32 v[47:48], null, s16, v76, 0
	v_mov_b32_e32 v41, v32
	v_add_co_u32 v36, vcc_lo, v55, v30
	s_wait_alu 0xfffd
	v_add_co_ci_u32_e32 v37, vcc_lo, v60, v31, vcc_lo
	s_delay_alu instid0(VALU_DEP_4)
	v_dual_mov_b32 v43, v46 :: v_dual_mov_b32 v46, v48
	v_lshlrev_b64_e32 v[40:41], 4, v[40:41]
	s_clause 0x3
	global_load_b128 v[28:31], v[24:25], off
	global_load_b128 v[24:27], v[26:27], off
	;; [unrolled: 1-line block ×4, first 2 shown]
	v_mad_co_u64_u32 v[48:49], null, s17, v67, v[45:46]
	v_mad_co_u64_u32 v[49:50], null, s16, v66, 0
	v_mad_co_u64_u32 v[51:52], null, s17, v76, v[46:47]
	v_mad_co_u64_u32 v[52:53], null, s16, v75, 0
	s_delay_alu instid0(VALU_DEP_4)
	v_mov_b32_e32 v45, v48
	v_add_co_u32 v40, vcc_lo, v55, v40
	v_mov_b32_e32 v46, v50
	v_mov_b32_e32 v48, v51
	v_lshlrev_b64_e32 v[42:43], 4, v[42:43]
	v_lshlrev_b64_e32 v[44:45], 4, v[44:45]
	s_wait_alu 0xfffd
	v_add_co_ci_u32_e32 v41, vcc_lo, v60, v41, vcc_lo
	v_mad_co_u64_u32 v[50:51], null, s17, v66, v[46:47]
	v_mov_b32_e32 v46, v53
	v_add_co_u32 v42, vcc_lo, v55, v42
	s_wait_alu 0xfffd
	v_add_co_ci_u32_e32 v43, vcc_lo, v60, v43, vcc_lo
	s_delay_alu instid0(VALU_DEP_3)
	v_mad_co_u64_u32 v[53:54], null, s17, v75, v[46:47]
	v_lshlrev_b64_e32 v[46:47], 4, v[47:48]
	v_add_co_u32 v56, vcc_lo, v55, v44
	s_wait_alu 0xfffd
	v_add_co_ci_u32_e32 v57, vcc_lo, v60, v45, vcc_lo
	v_lshlrev_b64_e32 v[44:45], 4, v[49:50]
	s_delay_alu instid0(VALU_DEP_4) | instskip(SKIP_3) | instid1(VALU_DEP_4)
	v_add_co_u32 v48, vcc_lo, v55, v46
	s_wait_alu 0xfffd
	v_add_co_ci_u32_e32 v49, vcc_lo, v60, v47, vcc_lo
	v_lshlrev_b64_e32 v[46:47], 4, v[52:53]
	v_add_co_u32 v58, vcc_lo, v55, v44
	s_wait_alu 0xfffd
	v_add_co_ci_u32_e32 v59, vcc_lo, v60, v45, vcc_lo
	s_delay_alu instid0(VALU_DEP_3)
	v_add_co_u32 v64, vcc_lo, v55, v46
	s_wait_alu 0xfffd
	v_add_co_ci_u32_e32 v65, vcc_lo, v60, v47, vcc_lo
	s_clause 0x5
	global_load_b128 v[52:55], v[40:41], off
	global_load_b128 v[44:47], v[42:43], off
	;; [unrolled: 1-line block ×6, first 2 shown]
.LBB0_14:
	s_wait_alu 0xfffe
	s_or_b32 exec_lo, exec_lo, s23
	v_mov_b32_e32 v65, s35
	v_or_b32_e32 v64, s34, v70
	s_xor_b32 s23, s22, -1
	s_delay_alu instid0(VALU_DEP_1) | instskip(SKIP_3) | instid1(SALU_CYCLE_1)
	v_cmp_gt_u64_e32 vcc_lo, s[30:31], v[64:65]
	s_and_b32 s1, s1, vcc_lo
	s_wait_alu 0xfffe
	s_and_b32 s1, s23, s1
	s_and_saveexec_b32 s23, s1
	s_cbranch_execz .LBB0_16
; %bb.15:
	s_wait_loadcnt 0xe
	v_mad_co_u64_u32 v[0:1], null, s18, v70, 0
	v_mad_co_u64_u32 v[2:3], null, s16, v71, 0
	;; [unrolled: 1-line block ×3, first 2 shown]
	s_wait_loadcnt 0xc
	v_mad_co_u64_u32 v[13:14], null, s16, v72, 0
	s_wait_loadcnt 0xb
	v_mad_co_u64_u32 v[15:16], null, s16, v80, 0
	s_delay_alu instid0(VALU_DEP_4) | instskip(NEXT) | instid1(VALU_DEP_4)
	v_mad_co_u64_u32 v[6:7], null, s19, v70, v[1:2]
	v_mad_co_u64_u32 v[7:8], null, s17, v71, v[3:4]
	;; [unrolled: 1-line block ×3, first 2 shown]
	v_mov_b32_e32 v1, v5
	s_lshl_b64 s[18:19], s[20:21], 4
	s_wait_loadcnt 0x8
	v_mad_co_u64_u32 v[26:27], null, s16, v79, 0
	s_wait_alu 0xfffe
	s_add_nc_u64 s[12:13], s[12:13], s[18:19]
	v_mad_co_u64_u32 v[10:11], null, s17, v82, v[1:2]
	v_mov_b32_e32 v1, v6
	v_mad_co_u64_u32 v[11:12], null, s16, v81, 0
	v_dual_mov_b32 v6, v9 :: v_dual_mov_b32 v3, v7
	v_mad_co_u64_u32 v[24:25], null, s16, v74, 0
	v_dual_mov_b32 v5, v10 :: v_dual_mov_b32 v10, v14
	v_lshlrev_b64_e32 v[0:1], 4, v[0:1]
	v_mov_b32_e32 v14, v16
	v_lshlrev_b64_e32 v[2:3], 4, v[2:3]
	v_mad_co_u64_u32 v[28:29], null, s16, v68, 0
	v_mad_co_u64_u32 v[30:31], null, s16, v78, 0
	s_wait_loadcnt 0x5
	s_wait_alu 0xfffe
	v_add_co_u32 v55, s1, s12, v0
	s_wait_loadcnt 0x1
	v_add_co_ci_u32_e64 v60, s1, s13, v1, s1
	v_lshlrev_b64_e32 v[0:1], 4, v[4:5]
	v_mad_co_u64_u32 v[4:5], null, s17, v73, v[6:7]
	v_mov_b32_e32 v5, v12
	v_add_co_u32 v2, s1, v55, v2
	s_wait_alu 0xf1ff
	v_add_co_ci_u32_e64 v3, s1, v60, v3, s1
	s_delay_alu instid0(VALU_DEP_3) | instskip(SKIP_4) | instid1(VALU_DEP_4)
	v_mad_co_u64_u32 v[17:18], null, s17, v81, v[5:6]
	v_add_co_u32 v0, s1, v55, v0
	s_wait_alu 0xf1ff
	v_add_co_ci_u32_e64 v1, s1, v60, v1, s1
	v_mad_co_u64_u32 v[40:41], null, s16, v69, 0
	v_mov_b32_e32 v12, v17
	v_mad_co_u64_u32 v[16:17], null, s17, v72, v[10:11]
	v_mad_co_u64_u32 v[17:18], null, s17, v80, v[14:15]
	v_mov_b32_e32 v9, v4
	s_delay_alu instid0(VALU_DEP_4)
	v_lshlrev_b64_e32 v[10:11], 4, v[11:12]
	v_mov_b32_e32 v12, v25
	v_mad_co_u64_u32 v[42:43], null, s16, v77, 0
	v_mov_b32_e32 v14, v16
	v_mov_b32_e32 v16, v17
	v_lshlrev_b64_e32 v[8:9], 4, v[8:9]
	v_mad_co_u64_u32 v[44:45], null, s16, v67, 0
	s_clause 0x1
	global_load_b128 v[4:7], v[2:3], off
	global_load_b128 v[0:3], v[0:1], off
	v_add_co_u32 v8, s1, v55, v8
	s_wait_alu 0xf1ff
	v_add_co_ci_u32_e64 v9, s1, v60, v9, s1
	v_add_co_u32 v17, s1, v55, v10
	s_wait_alu 0xf1ff
	v_add_co_ci_u32_e64 v18, s1, v60, v11, s1
	v_lshlrev_b64_e32 v[10:11], 4, v[13:14]
	v_lshlrev_b64_e32 v[13:14], 4, v[15:16]
	s_delay_alu instid0(VALU_DEP_2) | instskip(SKIP_1) | instid1(VALU_DEP_3)
	v_add_co_u32 v19, s1, v55, v10
	v_mov_b32_e32 v10, v27
	v_mad_co_u64_u32 v[15:16], null, s17, v74, v[12:13]
	s_wait_alu 0xf1ff
	v_add_co_ci_u32_e64 v20, s1, v60, v11, s1
	s_delay_alu instid0(VALU_DEP_3) | instskip(SKIP_1) | instid1(VALU_DEP_4)
	v_mad_co_u64_u32 v[32:33], null, s17, v79, v[10:11]
	v_add_co_u32 v21, s1, v55, v13
	v_mov_b32_e32 v25, v15
	s_wait_alu 0xf1ff
	v_add_co_ci_u32_e64 v22, s1, v60, v14, s1
	s_clause 0x3
	global_load_b128 v[8:11], v[8:9], off
	global_load_b128 v[12:15], v[17:18], off
	;; [unrolled: 1-line block ×4, first 2 shown]
	v_mov_b32_e32 v27, v32
	v_mad_co_u64_u32 v[32:33], null, s17, v68, v[29:30]
	v_lshlrev_b64_e32 v[24:25], 4, v[24:25]
	s_delay_alu instid0(VALU_DEP_3) | instskip(NEXT) | instid1(VALU_DEP_3)
	v_lshlrev_b64_e32 v[26:27], 4, v[26:27]
	v_mov_b32_e32 v29, v32
	v_mad_co_u64_u32 v[33:34], null, s17, v78, v[31:32]
	v_mov_b32_e32 v32, v41
	v_add_co_u32 v24, s1, v55, v24
	s_delay_alu instid0(VALU_DEP_4)
	v_lshlrev_b64_e32 v[28:29], 4, v[28:29]
	s_wait_alu 0xf1ff
	v_add_co_ci_u32_e64 v25, s1, v60, v25, s1
	v_add_co_u32 v26, s1, v55, v26
	v_mov_b32_e32 v31, v33
	s_wait_alu 0xf1ff
	v_add_co_ci_u32_e64 v27, s1, v60, v27, s1
	v_mad_co_u64_u32 v[32:33], null, s17, v69, v[32:33]
	v_add_co_u32 v33, s1, v55, v28
	v_mov_b32_e32 v28, v43
	v_lshlrev_b64_e32 v[30:31], 4, v[30:31]
	s_wait_alu 0xf1ff
	v_add_co_ci_u32_e64 v34, s1, v60, v29, s1
	s_delay_alu instid0(VALU_DEP_3)
	v_mad_co_u64_u32 v[46:47], null, s17, v77, v[28:29]
	v_mad_co_u64_u32 v[47:48], null, s16, v76, 0
	v_mov_b32_e32 v41, v32
	v_add_co_u32 v36, s1, v55, v30
	s_wait_alu 0xf1ff
	v_add_co_ci_u32_e64 v37, s1, v60, v31, s1
	s_delay_alu instid0(VALU_DEP_4)
	v_dual_mov_b32 v43, v46 :: v_dual_mov_b32 v46, v48
	v_lshlrev_b64_e32 v[40:41], 4, v[40:41]
	s_clause 0x3
	global_load_b128 v[28:31], v[24:25], off
	global_load_b128 v[24:27], v[26:27], off
	;; [unrolled: 1-line block ×4, first 2 shown]
	v_mad_co_u64_u32 v[48:49], null, s17, v67, v[45:46]
	v_mad_co_u64_u32 v[49:50], null, s16, v66, 0
	;; [unrolled: 1-line block ×4, first 2 shown]
	s_delay_alu instid0(VALU_DEP_4)
	v_mov_b32_e32 v45, v48
	v_add_co_u32 v40, s1, v55, v40
	v_mov_b32_e32 v46, v50
	v_mov_b32_e32 v48, v51
	v_lshlrev_b64_e32 v[42:43], 4, v[42:43]
	v_lshlrev_b64_e32 v[44:45], 4, v[44:45]
	s_wait_alu 0xf1ff
	v_add_co_ci_u32_e64 v41, s1, v60, v41, s1
	v_mad_co_u64_u32 v[50:51], null, s17, v66, v[46:47]
	v_mov_b32_e32 v46, v53
	v_add_co_u32 v42, s1, v55, v42
	s_wait_alu 0xf1ff
	v_add_co_ci_u32_e64 v43, s1, v60, v43, s1
	s_delay_alu instid0(VALU_DEP_3)
	v_mad_co_u64_u32 v[53:54], null, s17, v75, v[46:47]
	v_lshlrev_b64_e32 v[46:47], 4, v[47:48]
	s_wait_loadcnt 0xa
	v_add_co_u32 v56, s1, v55, v44
	s_wait_alu 0xf1ff
	v_add_co_ci_u32_e64 v57, s1, v60, v45, s1
	v_lshlrev_b64_e32 v[44:45], 4, v[49:50]
	v_add_co_u32 v48, s1, v55, v46
	s_wait_alu 0xf1ff
	v_add_co_ci_u32_e64 v49, s1, v60, v47, s1
	v_lshlrev_b64_e32 v[46:47], 4, v[52:53]
	s_delay_alu instid0(VALU_DEP_4) | instskip(SKIP_2) | instid1(VALU_DEP_3)
	v_add_co_u32 v58, s1, v55, v44
	s_wait_alu 0xf1ff
	v_add_co_ci_u32_e64 v59, s1, v60, v45, s1
	v_add_co_u32 v75, s1, v55, v46
	s_wait_alu 0xf1ff
	v_add_co_ci_u32_e64 v76, s1, v60, v47, s1
	s_clause 0x5
	global_load_b128 v[52:55], v[40:41], off
	global_load_b128 v[44:47], v[42:43], off
	;; [unrolled: 1-line block ×6, first 2 shown]
.LBB0_16:
	s_wait_alu 0xfffe
	s_or_b32 exec_lo, exec_lo, s23
	v_lshlrev_b32_e32 v65, 8, v71
	s_and_saveexec_b32 s1, s0
	s_wait_alu 0xfffe
	s_xor_b32 s0, exec_lo, s1
; %bb.17:
	v_lshlrev_b32_e32 v65, 8, v71
                                        ; implicit-def: $vgpr2_vgpr3
                                        ; implicit-def: $vgpr10_vgpr11
                                        ; implicit-def: $vgpr14_vgpr15
                                        ; implicit-def: $vgpr18_vgpr19
                                        ; implicit-def: $vgpr22_vgpr23
                                        ; implicit-def: $vgpr30_vgpr31
                                        ; implicit-def: $vgpr26_vgpr27
                                        ; implicit-def: $vgpr34_vgpr35
                                        ; implicit-def: $vgpr54_vgpr55
                                        ; implicit-def: $vgpr46_vgpr47
                                        ; implicit-def: $vgpr42_vgpr43
                                        ; implicit-def: $vgpr50_vgpr51
                                        ; implicit-def: $vgpr62_vgpr63
                                        ; implicit-def: $vgpr58_vgpr59
                                        ; implicit-def: $vgpr38_vgpr39
                                        ; implicit-def: $vgpr6_vgpr7
; %bb.18:
	s_wait_alu 0xfffe
	s_or_saveexec_b32 s16, s0
	v_lshlrev_b32_e32 v75, 4, v70
	s_wait_alu 0xfffe
	s_xor_b32 exec_lo, exec_lo, s16
	s_cbranch_execz .LBB0_20
; %bb.19:
	s_wait_loadcnt 0x7
	v_add_f64_e64 v[34:35], v[6:7], -v[34:35]
	s_wait_loadcnt 0x3
	v_add_f64_e64 v[40:41], v[16:17], -v[40:41]
	v_add_f64_e64 v[54:55], v[10:11], -v[54:55]
	s_wait_loadcnt 0x1
	v_add_f64_e64 v[60:61], v[28:29], -v[60:61]
	v_add_f64_e64 v[52:53], v[8:9], -v[52:53]
	;; [unrolled: 1-line block ×6, first 2 shown]
	s_wait_loadcnt 0x0
	v_add_f64_e64 v[56:57], v[24:25], -v[56:57]
	v_add_f64_e64 v[44:45], v[12:13], -v[44:45]
	;; [unrolled: 1-line block ×7, first 2 shown]
	s_mov_b32 s0, 0x667f3bcd
	s_mov_b32 s1, 0x3fe6a09e
	;; [unrolled: 1-line block ×3, first 2 shown]
	s_wait_alu 0xfffe
	s_mov_b32 s12, s0
	s_mov_b32 s18, 0xcf328d46
	;; [unrolled: 1-line block ×8, first 2 shown]
	s_wait_alu 0xfffe
	s_mov_b32 s34, s18
	v_fma_f64 v[6:7], v[6:7], 2.0, -v[34:35]
	v_add_f64_e32 v[76:77], v[40:41], v[34:35]
	v_fma_f64 v[10:11], v[10:11], 2.0, -v[54:55]
	v_add_f64_e32 v[78:79], v[54:55], v[60:61]
	v_fma_f64 v[28:29], v[28:29], 2.0, -v[60:61]
	v_add_f64_e64 v[80:81], v[52:53], -v[62:63]
	v_fma_f64 v[30:31], v[30:31], 2.0, -v[62:63]
	v_add_f64_e32 v[82:83], v[48:49], v[38:39]
	v_fma_f64 v[20:21], v[20:21], 2.0, -v[48:49]
	v_add_f64_e32 v[84:85], v[46:47], v[56:57]
	v_fma_f64 v[12:13], v[12:13], 2.0, -v[44:45]
	v_add_f64_e64 v[86:87], v[44:45], -v[58:59]
	v_fma_f64 v[0:1], v[0:1], 2.0, -v[36:37]
	v_add_f64_e64 v[88:89], v[36:37], -v[50:51]
	;; [unrolled: 2-line block ×3, first 2 shown]
	v_fma_f64 v[18:19], v[18:19], 2.0, -v[42:43]
	v_fma_f64 v[8:9], v[8:9], 2.0, -v[52:53]
	;; [unrolled: 1-line block ×10, first 2 shown]
	v_fma_f64 v[48:49], v[78:79], s[0:1], v[76:77]
	v_fma_f64 v[42:43], v[52:53], 2.0, -v[80:81]
	v_add_f64_e64 v[30:31], v[10:11], -v[30:31]
	v_fma_f64 v[38:39], v[38:39], 2.0, -v[82:83]
	v_fma_f64 v[46:47], v[46:47], 2.0, -v[84:85]
	v_fma_f64 v[50:51], v[84:85], s[0:1], v[82:83]
	v_fma_f64 v[44:45], v[44:45], 2.0, -v[86:87]
	v_add_f64_e64 v[20:21], v[0:1], -v[20:21]
	v_fma_f64 v[36:37], v[36:37], 2.0, -v[88:89]
	v_add_f64_e64 v[24:25], v[12:13], -v[24:25]
	;; [unrolled: 2-line block ×3, first 2 shown]
	v_fma_f64 v[52:53], v[86:87], s[0:1], v[88:89]
	v_add_f64_e64 v[28:29], v[8:9], -v[28:29]
	v_add_f64_e64 v[22:23], v[2:3], -v[22:23]
	v_fma_f64 v[54:55], v[80:81], s[0:1], v[90:91]
	v_add_f64_e64 v[26:27], v[14:15], -v[26:27]
	v_add_f64_e64 v[16:17], v[4:5], -v[16:17]
	v_fma_f64 v[56:57], v[40:41], s[12:13], v[34:35]
	v_fma_f64 v[48:49], v[80:81], s[0:1], v[48:49]
	v_fma_f64 v[10:11], v[10:11], 2.0, -v[30:31]
	v_fma_f64 v[58:59], v[46:47], s[12:13], v[38:39]
	v_fma_f64 v[50:51], v[86:87], s[0:1], v[50:51]
	v_fma_f64 v[0:1], v[0:1], 2.0, -v[20:21]
	v_fma_f64 v[60:61], v[44:45], s[12:13], v[36:37]
	v_fma_f64 v[12:13], v[12:13], 2.0, -v[24:25]
	;; [unrolled: 2-line block ×3, first 2 shown]
	v_fma_f64 v[52:53], v[84:85], s[12:13], v[52:53]
	v_add_f64_e32 v[80:81], v[28:29], v[18:19]
	v_add_f64_e32 v[24:25], v[24:25], v[22:23]
	v_fma_f64 v[54:55], v[78:79], s[12:13], v[54:55]
	v_add_f64_e64 v[84:85], v[20:21], -v[26:27]
	v_fma_f64 v[8:9], v[8:9], 2.0, -v[28:29]
	v_add_f64_e64 v[86:87], v[16:17], -v[30:31]
	v_fma_f64 v[4:5], v[4:5], 2.0, -v[16:17]
	v_fma_f64 v[2:3], v[2:3], 2.0, -v[22:23]
	;; [unrolled: 1-line block ×3, first 2 shown]
	v_fma_f64 v[56:57], v[42:43], s[0:1], v[56:57]
	v_fma_f64 v[26:27], v[44:45], s[0:1], v[58:59]
	v_fma_f64 v[44:45], v[76:77], 2.0, -v[48:49]
	v_fma_f64 v[28:29], v[46:47], s[12:13], v[60:61]
	v_fma_f64 v[58:59], v[40:41], s[12:13], v[62:63]
	v_add_f64_e64 v[40:41], v[6:7], -v[10:11]
	v_add_f64_e64 v[10:11], v[0:1], -v[12:13]
	v_fma_f64 v[60:61], v[18:19], 2.0, -v[80:81]
	v_fma_f64 v[22:23], v[22:23], 2.0, -v[24:25]
	;; [unrolled: 1-line block ×7, first 2 shown]
	v_add_f64_e64 v[46:47], v[4:5], -v[8:9]
	v_add_f64_e64 v[8:9], v[2:3], -v[14:15]
	v_fma_f64 v[16:17], v[24:25], s[0:1], v[80:81]
	v_fma_f64 v[20:21], v[84:85], s[0:1], v[86:87]
	;; [unrolled: 1-line block ×3, first 2 shown]
	v_fma_f64 v[78:79], v[34:35], 2.0, -v[56:57]
	v_fma_f64 v[34:35], v[38:39], 2.0, -v[26:27]
	v_fma_f64 v[38:39], v[26:27], s[20:21], v[56:57]
	v_fma_f64 v[36:37], v[36:37], 2.0, -v[28:29]
	v_fma_f64 v[82:83], v[32:33], 2.0, -v[58:59]
	v_fma_f64 v[32:33], v[52:53], s[18:19], v[54:55]
	v_fma_f64 v[42:43], v[28:29], s[20:21], v[58:59]
	v_fma_f64 v[96:97], v[6:7], 2.0, -v[40:41]
	v_fma_f64 v[90:91], v[22:23], s[12:13], v[60:61]
	v_fma_f64 v[88:89], v[12:13], s[30:31], v[44:45]
	v_fma_f64 v[102:103], v[0:1], 2.0, -v[10:11]
	v_add_f64_e32 v[10:11], v[10:11], v[40:41]
	v_fma_f64 v[92:93], v[18:19], s[12:13], v[62:63]
	v_fma_f64 v[94:95], v[30:31], s[30:31], v[76:77]
	v_fma_f64 v[100:101], v[4:5], 2.0, -v[46:47]
	v_fma_f64 v[98:99], v[2:3], 2.0, -v[8:9]
	v_fma_f64 v[6:7], v[84:85], s[0:1], v[16:17]
	v_fma_f64 v[4:5], v[24:25], s[12:13], v[20:21]
	;; [unrolled: 1-line block ×3, first 2 shown]
	v_add_f64_e64 v[8:9], v[46:47], -v[8:9]
	s_wait_alu 0xfffe
	v_fma_f64 v[104:105], v[34:35], s[34:35], v[78:79]
	v_fma_f64 v[106:107], v[36:37], s[34:35], v[82:83]
	;; [unrolled: 1-line block ×6, first 2 shown]
	v_fma_f64 v[42:43], v[40:41], 2.0, -v[10:11]
	v_fma_f64 v[16:17], v[22:23], s[12:13], v[92:93]
	v_fma_f64 v[12:13], v[12:13], s[34:35], v[94:95]
	;; [unrolled: 1-line block ×3, first 2 shown]
	v_add_f64_e64 v[26:27], v[96:97], -v[98:99]
	v_add_f64_e64 v[24:25], v[100:101], -v[102:103]
	v_fma_f64 v[38:39], v[80:81], 2.0, -v[6:7]
	v_fma_f64 v[40:41], v[46:47], 2.0, -v[8:9]
	v_fma_f64 v[30:31], v[36:37], s[20:21], v[104:105]
	v_fma_f64 v[36:37], v[86:87], 2.0, -v[4:5]
	v_fma_f64 v[28:29], v[34:35], s[30:31], v[106:107]
	v_fma_f64 v[34:35], v[48:49], 2.0, -v[2:3]
	v_fma_f64 v[32:33], v[54:55], 2.0, -v[0:1]
	;; [unrolled: 1-line block ×10, first 2 shown]
	v_lshlrev_b32_e32 v76, 12, v71
	s_delay_alu instid0(VALU_DEP_1)
	v_add3_u32 v76, 0, v76, v75
	v_fma_f64 v[62:63], v[78:79], 2.0, -v[30:31]
	v_fma_f64 v[60:61], v[82:83], 2.0, -v[28:29]
	ds_store_b128 v76, v[36:39] offset:1536
	ds_store_b128 v76, v[32:35] offset:1792
	;; [unrolled: 1-line block ×12, first 2 shown]
	ds_store_b128 v76, v[56:59]
	ds_store_b128 v76, v[60:63] offset:256
	ds_store_b128 v76, v[4:7] offset:3584
	;; [unrolled: 1-line block ×3, first 2 shown]
.LBB0_20:
	s_or_b32 exec_lo, exec_lo, s16
	s_or_b32 s0, s22, vcc_lo
	global_wb scope:SCOPE_SE
	s_wait_loadcnt_dscnt 0x0
	s_barrier_signal -1
	s_barrier_wait -1
	global_inv scope:SCOPE_SE
	s_wait_alu 0xfffe
	s_and_saveexec_b32 s1, s0
	s_cbranch_execz .LBB0_22
; %bb.21:
	v_mul_u32_u24_e32 v0, 7, v71
	v_mul_lo_u32 v52, v64, v66
	v_mul_lo_u32 v53, v64, v67
	v_add3_u32 v55, 0, v65, v75
	v_mul_lo_u32 v54, v64, v69
	v_lshlrev_b32_e32 v24, 4, v0
	v_mul_lo_u32 v65, v64, v68
	v_mul_lo_u32 v119, v64, v72
	;; [unrolled: 1-line block ×3, first 2 shown]
	v_and_b32_e32 v28, 0xff, v52
	s_clause 0x6
	global_load_b128 v[0:3], v24, s[28:29]
	global_load_b128 v[20:23], v24, s[28:29] offset:64
	global_load_b128 v[16:19], v24, s[28:29] offset:32
	;; [unrolled: 1-line block ×6, first 2 shown]
	v_lshrrev_b32_e32 v29, 4, v52
	v_and_b32_e32 v36, 0xff, v53
	v_lshrrev_b32_e32 v37, 4, v53
	v_lshlrev_b32_e32 v28, 4, v28
	v_and_b32_e32 v56, 0xff, v54
	v_and_b32_e32 v32, 0xff0, v29
	v_lshlrev_b32_e32 v36, 4, v36
	s_clause 0x1
	global_load_b128 v[28:31], v28, s[8:9]
	global_load_b128 v[32:35], v32, s[8:9] offset:4096
	v_and_b32_e32 v40, 0xff0, v37
	s_clause 0x1
	global_load_b128 v[36:39], v36, s[8:9]
	global_load_b128 v[40:43], v40, s[8:9] offset:4096
	ds_load_b128 v[48:51], v55 offset:4096
	ds_load_b128 v[44:47], v55 offset:20480
	;; [unrolled: 1-line block ×3, first 2 shown]
	v_lshrrev_b32_e32 v58, 4, v54
	v_lshlrev_b32_e32 v57, 4, v56
	ds_load_b128 v[87:90], v55 offset:12288
	ds_load_b128 v[95:98], v55 offset:8192
	;; [unrolled: 1-line block ×3, first 2 shown]
	v_and_b32_e32 v56, 0xff0, v58
	ds_load_b128 v[58:61], v55
	global_load_b128 v[75:78], v57, s[8:9]
	v_and_b32_e32 v99, 0xff, v65
	v_lshrrev_b32_e32 v100, 4, v65
	global_load_b128 v[79:82], v56, s[8:9] offset:4096
	s_mov_b32 s0, 0x667f3bcd
	s_mov_b32 s1, 0x3fe6a09e
	v_lshlrev_b32_e32 v99, 4, v99
	v_and_b32_e32 v103, 0xff0, v100
	s_clause 0x1
	global_load_b128 v[99:102], v99, s[8:9]
	global_load_b128 v[103:106], v103, s[8:9] offset:4096
	s_wait_loadcnt_dscnt 0xe06
	v_mul_f64_e32 v[62:63], v[50:51], v[2:3]
	v_mul_f64_e32 v[2:3], v[48:49], v[2:3]
	s_wait_loadcnt_dscnt 0xd05
	v_mul_f64_e32 v[56:57], v[46:47], v[22:23]
	v_mul_f64_e32 v[22:23], v[44:45], v[22:23]
	;; [unrolled: 3-line block ×3, first 2 shown]
	v_fma_f64 v[62:63], v[48:49], v[0:1], -v[62:63]
	v_fma_f64 v[109:110], v[50:51], v[0:1], v[2:3]
	s_wait_loadcnt_dscnt 0xb01
	v_mul_f64_e32 v[48:49], v[91:92], v[14:15]
	v_mul_f64_e32 v[50:51], v[93:94], v[14:15]
	v_fma_f64 v[111:112], v[46:47], v[20:21], v[22:23]
	s_wait_loadcnt 0xa
	v_mul_f64_e32 v[22:23], v[83:84], v[10:11]
	v_mul_f64_e32 v[10:11], v[85:86], v[10:11]
	ds_load_b128 v[0:3], v55 offset:24576
	v_fma_f64 v[55:56], v[44:45], v[20:21], -v[56:57]
	v_mul_lo_u32 v57, v64, v74
	v_and_b32_e32 v20, 0xff, v119
	v_fma_f64 v[89:90], v[89:90], v[16:17], v[107:108]
	v_fma_f64 v[87:88], v[87:88], v[16:17], -v[18:19]
	v_lshrrev_b32_e32 v16, 4, v119
	s_delay_alu instid0(VALU_DEP_4) | instskip(SKIP_2) | instid1(VALU_DEP_4)
	v_lshlrev_b32_e32 v44, 4, v20
	v_and_b32_e32 v14, 0xff, v57
	v_lshrrev_b32_e32 v15, 4, v57
	v_and_b32_e32 v45, 0xff0, v16
	s_delay_alu instid0(VALU_DEP_3) | instskip(NEXT) | instid1(VALU_DEP_3)
	v_lshlrev_b32_e32 v14, 4, v14
	v_and_b32_e32 v18, 0xff0, v15
	s_clause 0x1
	global_load_b128 v[14:17], v14, s[8:9]
	global_load_b128 v[18:21], v18, s[8:9] offset:4096
	v_fma_f64 v[93:94], v[93:94], v[12:13], v[48:49]
	v_fma_f64 v[91:92], v[91:92], v[12:13], -v[50:51]
	s_wait_loadcnt 0xb
	v_mul_f64_e32 v[48:49], v[97:98], v[6:7]
	v_mul_f64_e32 v[50:51], v[95:96], v[6:7]
	v_fma_f64 v[85:86], v[85:86], v[8:9], v[22:23]
	v_fma_f64 v[83:84], v[83:84], v[8:9], -v[10:11]
	s_clause 0x1
	global_load_b128 v[6:9], v44, s[8:9]
	global_load_b128 v[10:13], v45, s[8:9] offset:4096
	v_and_b32_e32 v22, 0xff, v120
	v_lshrrev_b32_e32 v23, 4, v120
	v_add_f64_e64 v[55:56], v[62:63], -v[55:56]
	s_delay_alu instid0(VALU_DEP_3) | instskip(NEXT) | instid1(VALU_DEP_3)
	v_lshlrev_b32_e32 v22, 4, v22
	v_and_b32_e32 v23, 0xff0, v23
	global_load_b128 v[44:47], v22, s[8:9]
	v_add_f64_e64 v[91:92], v[87:88], -v[91:92]
	v_fma_f64 v[95:96], v[95:96], v[4:5], -v[48:49]
	v_fma_f64 v[97:98], v[97:98], v[4:5], v[50:51]
	global_load_b128 v[48:51], v23, s[8:9] offset:4096
	s_wait_loadcnt_dscnt 0xe00
	v_mul_f64_e32 v[4:5], v[2:3], v[26:27]
	v_mul_f64_e32 v[22:23], v[0:1], v[26:27]
	v_lshrrev_b32_e32 v26, 12, v52
	v_lshrrev_b32_e32 v27, 12, v53
	v_add_f64_e64 v[85:86], v[60:61], -v[85:86]
	v_add_f64_e64 v[83:84], v[58:59], -v[83:84]
	v_fma_f64 v[62:63], v[62:63], 2.0, -v[55:56]
	v_and_b32_e32 v26, 0xff0, v26
	v_and_b32_e32 v27, 0xff0, v27
	v_fma_f64 v[87:88], v[87:88], 2.0, -v[91:92]
	v_fma_f64 v[52:53], v[0:1], v[24:25], -v[4:5]
	s_wait_loadcnt 0xc
	v_mul_f64_e32 v[4:5], v[30:31], v[34:35]
	v_fma_f64 v[107:108], v[2:3], v[24:25], v[22:23]
	s_clause 0x1
	global_load_b128 v[0:3], v26, s[8:9] offset:8192
	global_load_b128 v[22:25], v27, s[8:9] offset:8192
	v_mul_f64_e32 v[26:27], v[28:29], v[34:35]
	s_wait_loadcnt 0xa
	v_mul_f64_e32 v[34:35], v[75:76], v[81:82]
	v_fma_f64 v[60:61], v[60:61], 2.0, -v[85:86]
	v_add_f64_e64 v[87:88], v[62:63], -v[87:88]
	v_fma_f64 v[113:114], v[28:29], v[32:33], -v[4:5]
	v_mul_f64_e32 v[4:5], v[38:39], v[42:43]
	v_fma_f64 v[115:116], v[30:31], v[32:33], v[26:27]
	v_mul_f64_e32 v[30:31], v[36:37], v[42:43]
	v_lshrrev_b32_e32 v26, 12, v54
	v_lshrrev_b32_e32 v27, 12, v65
	v_mul_lo_u32 v54, v64, v71
	s_delay_alu instid0(VALU_DEP_3) | instskip(NEXT) | instid1(VALU_DEP_3)
	v_and_b32_e32 v26, 0xff0, v26
	v_and_b32_e32 v32, 0xff0, v27
	global_load_b128 v[26:29], v26, s[8:9] offset:8192
	v_fma_f64 v[42:43], v[36:37], v[40:41], -v[4:5]
	v_mul_f64_e32 v[4:5], v[77:78], v[81:82]
	s_wait_loadcnt 0x9
	v_mul_f64_e32 v[81:82], v[101:102], v[105:106]
	v_fma_f64 v[77:78], v[77:78], v[79:80], v[34:35]
	v_lshrrev_b32_e32 v34, 12, v57
	v_lshrrev_b32_e32 v35, 12, v119
	v_fma_f64 v[117:118], v[38:39], v[40:41], v[30:31]
	global_load_b128 v[30:33], v32, s[8:9] offset:8192
	v_and_b32_e32 v34, 0xff0, v34
	v_and_b32_e32 v38, 0xff0, v35
	s_clause 0x1
	global_load_b128 v[34:37], v34, s[8:9] offset:8192
	global_load_b128 v[38:41], v38, s[8:9] offset:8192
	v_fma_f64 v[75:76], v[75:76], v[79:80], -v[4:5]
	v_mul_f64_e32 v[4:5], v[99:100], v[105:106]
	v_fma_f64 v[79:80], v[99:100], v[103:104], -v[81:82]
	v_mad_co_u64_u32 v[105:106], null, s4, v74, 0
	s_delay_alu instid0(VALU_DEP_3)
	v_fma_f64 v[81:82], v[101:102], v[103:104], v[4:5]
	v_mad_co_u64_u32 v[103:104], null, s4, v72, 0
	s_wait_loadcnt 0xa
	v_mul_f64_e32 v[4:5], v[16:17], v[20:21]
	v_mul_f64_e32 v[20:21], v[14:15], v[20:21]
	s_wait_loadcnt 0x8
	v_mul_f64_e32 v[99:100], v[8:9], v[12:13]
	v_mul_f64_e32 v[101:102], v[6:7], v[12:13]
	v_lshrrev_b32_e32 v12, 12, v54
	v_lshrrev_b32_e32 v13, 12, v120
	s_delay_alu instid0(VALU_DEP_2) | instskip(NEXT) | instid1(VALU_DEP_2)
	v_and_b32_e32 v12, 0xff0, v12
	v_and_b32_e32 v57, 0xff0, v13
	v_fma_f64 v[64:65], v[14:15], v[18:19], -v[4:5]
	v_fma_f64 v[20:21], v[16:17], v[18:19], v[20:21]
	s_clause 0x1
	global_load_b128 v[12:15], v12, s[8:9] offset:8192
	global_load_b128 v[16:19], v57, s[8:9] offset:8192
	v_fma_f64 v[57:58], v[58:59], 2.0, -v[83:84]
	s_wait_loadcnt 0x8
	v_mul_f64_e32 v[4:5], v[46:47], v[50:51]
	v_fma_f64 v[99:100], v[6:7], v[10:11], -v[99:100]
	v_mul_f64_e32 v[6:7], v[44:45], v[50:51]
	v_fma_f64 v[101:102], v[8:9], v[10:11], v[101:102]
	v_and_b32_e32 v8, 0xff, v54
	v_lshrrev_b32_e32 v9, 4, v54
	s_delay_alu instid0(VALU_DEP_2) | instskip(NEXT) | instid1(VALU_DEP_2)
	v_lshlrev_b32_e32 v8, 4, v8
	v_and_b32_e32 v9, 0xff0, v9
	v_fma_f64 v[44:45], v[44:45], v[48:49], -v[4:5]
	v_fma_f64 v[46:47], v[46:47], v[48:49], v[6:7]
	s_clause 0x1
	global_load_b128 v[4:7], v8, s[8:9]
	global_load_b128 v[8:11], v9, s[8:9] offset:4096
	s_wait_loadcnt 0x9
	v_mul_f64_e32 v[50:51], v[115:116], v[2:3]
	v_mul_f64_e32 v[2:3], v[113:114], v[2:3]
	s_wait_loadcnt 0x0
	v_mul_f64_e32 v[48:49], v[6:7], v[10:11]
	v_mul_f64_e32 v[10:11], v[4:5], v[10:11]
	s_delay_alu instid0(VALU_DEP_2) | instskip(NEXT) | instid1(VALU_DEP_2)
	v_fma_f64 v[4:5], v[4:5], v[8:9], -v[48:49]
	v_fma_f64 v[6:7], v[6:7], v[8:9], v[10:11]
	v_mul_f64_e32 v[8:9], v[117:118], v[24:25]
	v_mul_f64_e32 v[10:11], v[42:43], v[24:25]
	;; [unrolled: 1-line block ×4, first 2 shown]
	v_fma_f64 v[48:49], v[0:1], v[113:114], -v[50:51]
	v_fma_f64 v[0:1], v[0:1], v[115:116], v[2:3]
	v_mul_f64_e32 v[2:3], v[81:82], v[32:33]
	v_mul_f64_e32 v[32:33], v[79:80], v[32:33]
	v_mad_co_u64_u32 v[50:51], null, s6, v70, 0
	v_fma_f64 v[8:9], v[22:23], v[42:43], -v[8:9]
	v_mad_co_u64_u32 v[42:43], null, s4, v71, 0
	v_fma_f64 v[75:76], v[26:27], v[75:76], -v[24:25]
	v_fma_f64 v[26:27], v[26:27], v[77:78], v[28:29]
	v_fma_f64 v[10:11], v[22:23], v[117:118], v[10:11]
	v_mad_co_u64_u32 v[22:23], null, s4, v73, 0
	v_mad_co_u64_u32 v[28:29], null, s4, v69, 0
	;; [unrolled: 1-line block ×3, first 2 shown]
	v_fma_f64 v[79:80], v[30:31], v[79:80], -v[2:3]
	s_delay_alu instid0(VALU_DEP_4)
	v_dual_mov_b32 v2, v43 :: v_dual_mov_b32 v3, v23
	v_mov_b32_e32 v23, v104
	v_mad_co_u64_u32 v[77:78], null, s4, v67, 0
	v_fma_f64 v[30:31], v[30:31], v[81:82], v[32:33]
	v_mad_co_u64_u32 v[81:82], null, s7, v70, v[51:52]
	v_mad_co_u64_u32 v[70:71], null, s5, v71, v[2:3]
	;; [unrolled: 1-line block ×3, first 2 shown]
	v_mov_b32_e32 v3, v29
	v_mad_co_u64_u32 v[71:72], null, s5, v72, v[23:24]
	v_mad_co_u64_u32 v[72:73], null, s4, v66, 0
	v_mov_b32_e32 v32, v106
	v_add_f64_e64 v[51:52], v[95:96], -v[52:53]
	v_add_f64_e64 v[53:54], v[97:98], -v[107:108]
	s_wait_alu 0xfffe
	s_mov_b32 s4, s0
	v_mov_b32_e32 v43, v70
	v_mad_co_u64_u32 v[32:33], null, s5, v74, v[32:33]
	v_dual_mov_b32 v23, v2 :: v_dual_mov_b32 v104, v71
	v_mad_co_u64_u32 v[113:114], null, s5, v68, v[25:26]
	v_mad_co_u64_u32 v[68:69], null, s5, v69, v[3:4]
	v_mov_b32_e32 v3, v78
	s_delay_alu instid0(VALU_DEP_3) | instskip(NEXT) | instid1(VALU_DEP_2)
	v_mov_b32_e32 v25, v113
	v_mad_co_u64_u32 v[114:115], null, s5, v67, v[3:4]
	v_mov_b32_e32 v3, v73
	v_add_f64_e64 v[73:74], v[89:90], -v[93:94]
	v_add_f64_e64 v[93:94], v[109:110], -v[111:112]
	v_mov_b32_e32 v29, v68
	s_delay_alu instid0(VALU_DEP_4) | instskip(SKIP_2) | instid1(VALU_DEP_1)
	v_mad_co_u64_u32 v[66:67], null, s5, v66, v[3:4]
	s_mov_b32 s5, 0xbfe6a09e
	v_mov_b32_e32 v78, v114
	v_lshlrev_b64_e32 v[77:78], 4, v[77:78]
	v_fma_f64 v[95:96], v[95:96], 2.0, -v[51:52]
	v_fma_f64 v[97:98], v[97:98], 2.0, -v[53:54]
	v_add_f64_e32 v[106:107], v[85:86], v[51:52]
	v_add_f64_e64 v[52:53], v[83:84], -v[53:54]
	v_mov_b32_e32 v51, v81
	v_fma_f64 v[89:90], v[89:90], 2.0, -v[73:74]
	v_add_f64_e32 v[91:92], v[93:94], v[91:92]
	v_add_f64_e64 v[73:74], v[55:56], -v[73:74]
	v_fma_f64 v[108:109], v[109:110], 2.0, -v[93:94]
	v_add_f64_e64 v[95:96], v[57:58], -v[95:96]
	v_add_f64_e64 v[97:98], v[60:61], -v[97:98]
	v_fma_f64 v[85:86], v[85:86], 2.0, -v[106:107]
	v_fma_f64 v[82:83], v[83:84], 2.0, -v[52:53]
	v_fma_f64 v[93:94], v[93:94], 2.0, -v[91:92]
	v_fma_f64 v[54:55], v[55:56], 2.0, -v[73:74]
	v_add_f64_e64 v[89:90], v[108:109], -v[89:90]
	v_fma_f64 v[110:111], v[91:92], s[0:1], v[106:107]
	v_fma_f64 v[69:70], v[73:74], s[0:1], v[52:53]
	v_fma_f64 v[56:57], v[57:58], 2.0, -v[95:96]
	v_fma_f64 v[59:60], v[60:61], 2.0, -v[97:98]
	;; [unrolled: 1-line block ×3, first 2 shown]
	v_add_f64_e32 v[87:88], v[97:98], v[87:88]
	s_wait_alu 0xfffe
	v_fma_f64 v[2:3], v[93:94], s[4:5], v[85:86]
	v_fma_f64 v[115:116], v[54:55], s[4:5], v[82:83]
	v_fma_f64 v[108:109], v[108:109], 2.0, -v[89:90]
	v_fma_f64 v[110:111], v[73:74], s[0:1], v[110:111]
	v_mul_f64_e32 v[73:74], v[64:65], v[36:37]
	v_fma_f64 v[69:70], v[91:92], s[4:5], v[69:70]
	v_mul_f64_e32 v[91:92], v[99:100], v[40:41]
	v_add_f64_e64 v[89:90], v[95:96], -v[89:90]
	v_mul_f64_e32 v[40:41], v[101:102], v[40:41]
	v_add_f64_e64 v[61:62], v[56:57], -v[61:62]
	v_fma_f64 v[54:55], v[54:55], s[0:1], v[2:3]
	v_mul_f64_e32 v[2:3], v[4:5], v[14:15]
	v_fma_f64 v[93:94], v[93:94], s[4:5], v[115:116]
	v_mul_f64_e32 v[115:116], v[44:45], v[18:19]
	v_add_f64_e64 v[108:109], v[59:60], -v[108:109]
	v_fma_f64 v[73:74], v[34:35], v[20:21], v[73:74]
	v_mul_f64_e32 v[20:21], v[20:21], v[36:37]
	v_fma_f64 v[36:37], v[38:39], v[101:102], v[91:92]
	v_mul_f64_e32 v[18:19], v[46:47], v[18:19]
	v_fma_f64 v[91:92], v[97:98], 2.0, -v[87:88]
	v_fma_f64 v[52:53], v[52:53], 2.0, -v[69:70]
	s_add_nc_u64 s[0:1], s[2:3], s[10:11]
	s_lshl_b64 s[2:3], s[26:27], 4
	s_load_b64 s[0:1], s[0:1], 0x0
	v_fma_f64 v[56:57], v[56:57], 2.0, -v[61:62]
	s_wait_kmcnt 0x0
	s_mul_u64 s[0:1], s[0:1], s[24:25]
	s_wait_alu 0xfffe
	s_lshl_b64 s[0:1], s[0:1], 4
	s_wait_alu 0xfffe
	s_add_nc_u64 s[0:1], s[14:15], s[0:1]
	v_mul_f64_e32 v[117:118], v[54:55], v[26:27]
	v_fma_f64 v[2:3], v[12:13], v[6:7], v[2:3]
	v_mul_f64_e32 v[6:7], v[6:7], v[14:15]
	v_fma_f64 v[14:15], v[16:17], v[46:47], v[115:116]
	v_fma_f64 v[46:47], v[95:96], 2.0, -v[89:90]
	v_fma_f64 v[58:59], v[59:60], 2.0, -v[108:109]
	;; [unrolled: 1-line block ×5, first 2 shown]
	v_fma_f64 v[33:34], v[34:35], v[64:65], -v[20:21]
	v_fma_f64 v[20:21], v[38:39], v[99:100], -v[40:41]
	;; [unrolled: 1-line block ×3, first 2 shown]
	v_mul_f64_e32 v[99:100], v[52:53], v[73:74]
	v_mul_f64_e32 v[39:40], v[61:62], v[30:31]
	;; [unrolled: 1-line block ×3, first 2 shown]
	s_wait_alu 0xfffe
	s_add_nc_u64 s[0:1], s[0:1], s[2:3]
	v_mov_b32_e32 v106, v32
	v_lshlrev_b64_e32 v[41:42], 4, v[42:43]
	s_delay_alu instid0(VALU_DEP_2)
	v_lshlrev_b64_e32 v[67:68], 4, v[105:106]
	v_lshlrev_b64_e32 v[105:106], 4, v[28:29]
	v_mul_f64_e32 v[44:45], v[56:57], v[2:3]
	v_fma_f64 v[12:13], v[12:13], v[4:5], -v[6:7]
	v_mul_f64_e32 v[4:5], v[69:70], v[0:1]
	v_mul_f64_e32 v[6:7], v[89:90], v[10:11]
	;; [unrolled: 1-line block ×11, first 2 shown]
	v_lshlrev_b64_e32 v[2:3], 4, v[50:51]
	v_mov_b32_e32 v73, v66
	v_lshlrev_b64_e32 v[50:51], 4, v[22:23]
	v_lshlrev_b64_e32 v[65:66], 4, v[103:104]
	;; [unrolled: 1-line block ×3, first 2 shown]
	v_fma_f64 v[30:31], v[85:86], v[33:34], v[99:100]
	s_wait_alu 0xfffe
	v_add_co_u32 v60, vcc_lo, s0, v2
	v_lshlrev_b64_e32 v[71:72], 4, v[72:73]
	s_wait_alu 0xfffd
	v_add_co_ci_u32_e32 v73, vcc_lo, s1, v3, vcc_lo
	s_delay_alu instid0(VALU_DEP_3)
	v_add_co_u32 v32, vcc_lo, v60, v41
	v_fma_f64 v[22:23], v[58:59], v[12:13], v[44:45]
	v_fma_f64 v[2:3], v[110:111], v[48:49], v[4:5]
	;; [unrolled: 1-line block ×3, first 2 shown]
	v_fma_f64 v[4:5], v[89:90], v[8:9], -v[10:11]
	v_fma_f64 v[10:11], v[91:92], v[20:21], v[18:19]
	v_fma_f64 v[8:9], v[46:47], v[20:21], -v[35:36]
	v_fma_f64 v[20:21], v[56:57], v[12:13], -v[63:64]
	v_fma_f64 v[26:27], v[83:84], v[16:17], v[95:96]
	v_fma_f64 v[24:25], v[81:82], v[16:17], -v[97:98]
	;; [unrolled: 3-line block ×3, first 2 shown]
	v_fma_f64 v[14:15], v[54:55], v[75:76], v[37:38]
	v_fma_f64 v[12:13], v[93:94], v[75:76], -v[117:118]
	v_fma_f64 v[0:1], v[69:70], v[48:49], -v[0:1]
	s_wait_alu 0xfffd
	v_add_co_ci_u32_e32 v33, vcc_lo, v73, v42, vcc_lo
	v_add_co_u32 v34, vcc_lo, v60, v50
	s_wait_alu 0xfffd
	v_add_co_ci_u32_e32 v35, vcc_lo, v73, v51, vcc_lo
	v_add_co_u32 v36, vcc_lo, v60, v65
	;; [unrolled: 3-line block ×7, first 2 shown]
	s_wait_alu 0xfffd
	v_add_co_ci_u32_e32 v47, vcc_lo, v73, v72, vcc_lo
	s_clause 0x7
	global_store_b128 v[32:33], v[20:23], off
	global_store_b128 v[34:35], v[24:27], off
	;; [unrolled: 1-line block ×8, first 2 shown]
.LBB0_22:
	s_nop 0
	s_sendmsg sendmsg(MSG_DEALLOC_VGPRS)
	s_endpgm
	.section	.rodata,"a",@progbits
	.p2align	6, 0x0
	.amdhsa_kernel fft_rtc_fwd_len128_factors_16_8_wgs_256_tpt_16_dp_op_CI_CI_sbcc_twdbase8_3step_dirReg
		.amdhsa_group_segment_fixed_size 0
		.amdhsa_private_segment_fixed_size 0
		.amdhsa_kernarg_size 112
		.amdhsa_user_sgpr_count 2
		.amdhsa_user_sgpr_dispatch_ptr 0
		.amdhsa_user_sgpr_queue_ptr 0
		.amdhsa_user_sgpr_kernarg_segment_ptr 1
		.amdhsa_user_sgpr_dispatch_id 0
		.amdhsa_user_sgpr_private_segment_size 0
		.amdhsa_wavefront_size32 1
		.amdhsa_uses_dynamic_stack 0
		.amdhsa_enable_private_segment 0
		.amdhsa_system_sgpr_workgroup_id_x 1
		.amdhsa_system_sgpr_workgroup_id_y 0
		.amdhsa_system_sgpr_workgroup_id_z 0
		.amdhsa_system_sgpr_workgroup_info 0
		.amdhsa_system_vgpr_workitem_id 0
		.amdhsa_next_free_vgpr 121
		.amdhsa_next_free_sgpr 61
		.amdhsa_reserve_vcc 1
		.amdhsa_float_round_mode_32 0
		.amdhsa_float_round_mode_16_64 0
		.amdhsa_float_denorm_mode_32 3
		.amdhsa_float_denorm_mode_16_64 3
		.amdhsa_fp16_overflow 0
		.amdhsa_workgroup_processor_mode 1
		.amdhsa_memory_ordered 1
		.amdhsa_forward_progress 0
		.amdhsa_round_robin_scheduling 0
		.amdhsa_exception_fp_ieee_invalid_op 0
		.amdhsa_exception_fp_denorm_src 0
		.amdhsa_exception_fp_ieee_div_zero 0
		.amdhsa_exception_fp_ieee_overflow 0
		.amdhsa_exception_fp_ieee_underflow 0
		.amdhsa_exception_fp_ieee_inexact 0
		.amdhsa_exception_int_div_zero 0
	.end_amdhsa_kernel
	.text
.Lfunc_end0:
	.size	fft_rtc_fwd_len128_factors_16_8_wgs_256_tpt_16_dp_op_CI_CI_sbcc_twdbase8_3step_dirReg, .Lfunc_end0-fft_rtc_fwd_len128_factors_16_8_wgs_256_tpt_16_dp_op_CI_CI_sbcc_twdbase8_3step_dirReg
                                        ; -- End function
	.section	.AMDGPU.csdata,"",@progbits
; Kernel info:
; codeLenInByte = 7776
; NumSgprs: 63
; NumVgprs: 121
; ScratchSize: 0
; MemoryBound: 1
; FloatMode: 240
; IeeeMode: 1
; LDSByteSize: 0 bytes/workgroup (compile time only)
; SGPRBlocks: 7
; VGPRBlocks: 15
; NumSGPRsForWavesPerEU: 63
; NumVGPRsForWavesPerEU: 121
; Occupancy: 10
; WaveLimiterHint : 1
; COMPUTE_PGM_RSRC2:SCRATCH_EN: 0
; COMPUTE_PGM_RSRC2:USER_SGPR: 2
; COMPUTE_PGM_RSRC2:TRAP_HANDLER: 0
; COMPUTE_PGM_RSRC2:TGID_X_EN: 1
; COMPUTE_PGM_RSRC2:TGID_Y_EN: 0
; COMPUTE_PGM_RSRC2:TGID_Z_EN: 0
; COMPUTE_PGM_RSRC2:TIDIG_COMP_CNT: 0
	.text
	.p2alignl 7, 3214868480
	.fill 96, 4, 3214868480
	.type	__hip_cuid_c87e764e6db2107a,@object ; @__hip_cuid_c87e764e6db2107a
	.section	.bss,"aw",@nobits
	.globl	__hip_cuid_c87e764e6db2107a
__hip_cuid_c87e764e6db2107a:
	.byte	0                               ; 0x0
	.size	__hip_cuid_c87e764e6db2107a, 1

	.ident	"AMD clang version 19.0.0git (https://github.com/RadeonOpenCompute/llvm-project roc-6.4.0 25133 c7fe45cf4b819c5991fe208aaa96edf142730f1d)"
	.section	".note.GNU-stack","",@progbits
	.addrsig
	.addrsig_sym __hip_cuid_c87e764e6db2107a
	.amdgpu_metadata
---
amdhsa.kernels:
  - .args:
      - .actual_access:  read_only
        .address_space:  global
        .offset:         0
        .size:           8
        .value_kind:     global_buffer
      - .address_space:  global
        .offset:         8
        .size:           8
        .value_kind:     global_buffer
      - .offset:         16
        .size:           8
        .value_kind:     by_value
      - .actual_access:  read_only
        .address_space:  global
        .offset:         24
        .size:           8
        .value_kind:     global_buffer
      - .actual_access:  read_only
        .address_space:  global
        .offset:         32
        .size:           8
        .value_kind:     global_buffer
      - .actual_access:  read_only
        .address_space:  global
        .offset:         40
        .size:           8
        .value_kind:     global_buffer
      - .offset:         48
        .size:           8
        .value_kind:     by_value
      - .actual_access:  read_only
        .address_space:  global
        .offset:         56
        .size:           8
        .value_kind:     global_buffer
      - .actual_access:  read_only
        .address_space:  global
        .offset:         64
        .size:           8
        .value_kind:     global_buffer
      - .offset:         72
        .size:           4
        .value_kind:     by_value
      - .actual_access:  read_only
        .address_space:  global
        .offset:         80
        .size:           8
        .value_kind:     global_buffer
      - .actual_access:  read_only
        .address_space:  global
        .offset:         88
        .size:           8
        .value_kind:     global_buffer
      - .actual_access:  read_only
        .address_space:  global
        .offset:         96
        .size:           8
        .value_kind:     global_buffer
      - .actual_access:  write_only
        .address_space:  global
        .offset:         104
        .size:           8
        .value_kind:     global_buffer
    .group_segment_fixed_size: 0
    .kernarg_segment_align: 8
    .kernarg_segment_size: 112
    .language:       OpenCL C
    .language_version:
      - 2
      - 0
    .max_flat_workgroup_size: 256
    .name:           fft_rtc_fwd_len128_factors_16_8_wgs_256_tpt_16_dp_op_CI_CI_sbcc_twdbase8_3step_dirReg
    .private_segment_fixed_size: 0
    .sgpr_count:     63
    .sgpr_spill_count: 0
    .symbol:         fft_rtc_fwd_len128_factors_16_8_wgs_256_tpt_16_dp_op_CI_CI_sbcc_twdbase8_3step_dirReg.kd
    .uniform_work_group_size: 1
    .uses_dynamic_stack: false
    .vgpr_count:     121
    .vgpr_spill_count: 0
    .wavefront_size: 32
    .workgroup_processor_mode: 1
amdhsa.target:   amdgcn-amd-amdhsa--gfx1201
amdhsa.version:
  - 1
  - 2
...

	.end_amdgpu_metadata
